;; amdgpu-corpus repo=llvm/llvm-project kind=harvested arch=n/a opt=n/a
// NOTE: Assertions have been autogenerated by utils/update_mc_test_checks.py UTC_ARGS: --unique --sort --version 6
// RUN: llvm-mc -triple=amdgcn -show-encoding -mcpu=gfx1100 %s | FileCheck --check-prefix=GFX11 %s

s_addk_i32 exec_hi, 0x1234
// GFX11: s_addk_i32 exec_hi, 0x1234              ; encoding: [0x34,0x12,0xff,0xb7]

s_addk_i32 exec_lo, 0x1234
// GFX11: s_addk_i32 exec_lo, 0x1234              ; encoding: [0x34,0x12,0xfe,0xb7]

s_addk_i32 m0, 0x1234
// GFX11: s_addk_i32 m0, 0x1234                   ; encoding: [0x34,0x12,0xfd,0xb7]

s_addk_i32 s0, 0x1234
// GFX11: s_addk_i32 s0, 0x1234                   ; encoding: [0x34,0x12,0x80,0xb7]
	;; [unrolled: 3-line block ×3, first 2 shown]

s_addk_i32 s105, 0x1234
// GFX11: s_addk_i32 s105, 0x1234                 ; encoding: [0x34,0x12,0xe9,0xb7]

s_addk_i32 vcc_hi, 0x1234
// GFX11: s_addk_i32 vcc_hi, 0x1234               ; encoding: [0x34,0x12,0xeb,0xb7]

s_addk_i32 vcc_lo, 0x1234
// GFX11: s_addk_i32 vcc_lo, 0x1234               ; encoding: [0x34,0x12,0xea,0xb7]

s_call_b64 exec, 0x1234
// GFX11: s_call_b64 exec, 4660                   ; encoding: [0x34,0x12,0x7e,0xba]

s_call_b64 null, 0x1234
// GFX11: s_call_b64 null, 4660                   ; encoding: [0x34,0x12,0x7c,0xba]

s_call_b64 s[0:1], 0x1234
// GFX11: s_call_b64 s[0:1], 4660                 ; encoding: [0x34,0x12,0x00,0xba]

s_call_b64 s[104:105], 0x1234
// GFX11: s_call_b64 s[104:105], 4660             ; encoding: [0x34,0x12,0x68,0xba]

s_call_b64 vcc, 0x1234
// GFX11: s_call_b64 vcc, 4660                    ; encoding: [0x34,0x12,0x6a,0xba]

s_cmovk_i32 exec_hi, 0x1234
// GFX11: s_cmovk_i32 exec_hi, 0x1234             ; encoding: [0x34,0x12,0x7f,0xb1]

s_cmovk_i32 exec_lo, 0x1234
// GFX11: s_cmovk_i32 exec_lo, 0x1234             ; encoding: [0x34,0x12,0x7e,0xb1]

s_cmovk_i32 m0, 0x1234
// GFX11: s_cmovk_i32 m0, 0x1234                  ; encoding: [0x34,0x12,0x7d,0xb1]

s_cmovk_i32 s0, 0x1234
// GFX11: s_cmovk_i32 s0, 0x1234                  ; encoding: [0x34,0x12,0x00,0xb1]
	;; [unrolled: 3-line block ×3, first 2 shown]

s_cmovk_i32 s105, 0x1234
// GFX11: s_cmovk_i32 s105, 0x1234                ; encoding: [0x34,0x12,0x69,0xb1]

s_cmovk_i32 vcc_hi, 0x1234
// GFX11: s_cmovk_i32 vcc_hi, 0x1234              ; encoding: [0x34,0x12,0x6b,0xb1]

s_cmovk_i32 vcc_lo, 0x1234
// GFX11: s_cmovk_i32 vcc_lo, 0x1234              ; encoding: [0x34,0x12,0x6a,0xb1]

s_cmpk_eq_i32 exec_hi, 0x1234
// GFX11: s_cmpk_eq_i32 exec_hi, 0x1234           ; encoding: [0x34,0x12,0xff,0xb1]

s_cmpk_eq_i32 exec_lo, 0x1234
// GFX11: s_cmpk_eq_i32 exec_lo, 0x1234           ; encoding: [0x34,0x12,0xfe,0xb1]

s_cmpk_eq_i32 m0, 0x1234
// GFX11: s_cmpk_eq_i32 m0, 0x1234                ; encoding: [0x34,0x12,0xfd,0xb1]

s_cmpk_eq_i32 s0, 0x1234
// GFX11: s_cmpk_eq_i32 s0, 0x1234                ; encoding: [0x34,0x12,0x80,0xb1]

s_cmpk_eq_i32 s0, 0xc1d1
// GFX11: s_cmpk_eq_i32 s0, 0xc1d1                ; encoding: [0xd1,0xc1,0x80,0xb1]

s_cmpk_eq_i32 s105, 0x1234
// GFX11: s_cmpk_eq_i32 s105, 0x1234              ; encoding: [0x34,0x12,0xe9,0xb1]

s_cmpk_eq_i32 vcc_hi, 0x1234
// GFX11: s_cmpk_eq_i32 vcc_hi, 0x1234            ; encoding: [0x34,0x12,0xeb,0xb1]

s_cmpk_eq_i32 vcc_lo, 0x1234
// GFX11: s_cmpk_eq_i32 vcc_lo, 0x1234            ; encoding: [0x34,0x12,0xea,0xb1]

s_cmpk_eq_u32 exec_hi, 0x1234
// GFX11: s_cmpk_eq_u32 exec_hi, 0x1234           ; encoding: [0x34,0x12,0xff,0xb4]

s_cmpk_eq_u32 exec_lo, 0x1234
// GFX11: s_cmpk_eq_u32 exec_lo, 0x1234           ; encoding: [0x34,0x12,0xfe,0xb4]

s_cmpk_eq_u32 m0, 0x1234
// GFX11: s_cmpk_eq_u32 m0, 0x1234                ; encoding: [0x34,0x12,0xfd,0xb4]

s_cmpk_eq_u32 s0, 0x1234
// GFX11: s_cmpk_eq_u32 s0, 0x1234                ; encoding: [0x34,0x12,0x80,0xb4]
	;; [unrolled: 3-line block ×3, first 2 shown]

s_cmpk_eq_u32 s105, 0x1234
// GFX11: s_cmpk_eq_u32 s105, 0x1234              ; encoding: [0x34,0x12,0xe9,0xb4]

s_cmpk_eq_u32 vcc_hi, 0x1234
// GFX11: s_cmpk_eq_u32 vcc_hi, 0x1234            ; encoding: [0x34,0x12,0xeb,0xb4]

s_cmpk_eq_u32 vcc_lo, 0x1234
// GFX11: s_cmpk_eq_u32 vcc_lo, 0x1234            ; encoding: [0x34,0x12,0xea,0xb4]

s_cmpk_ge_i32 exec_hi, 0x1234
// GFX11: s_cmpk_ge_i32 exec_hi, 0x1234           ; encoding: [0x34,0x12,0x7f,0xb3]

s_cmpk_ge_i32 exec_lo, 0x1234
// GFX11: s_cmpk_ge_i32 exec_lo, 0x1234           ; encoding: [0x34,0x12,0x7e,0xb3]

s_cmpk_ge_i32 m0, 0x1234
// GFX11: s_cmpk_ge_i32 m0, 0x1234                ; encoding: [0x34,0x12,0x7d,0xb3]

s_cmpk_ge_i32 s0, 0x1234
// GFX11: s_cmpk_ge_i32 s0, 0x1234                ; encoding: [0x34,0x12,0x00,0xb3]
	;; [unrolled: 3-line block ×3, first 2 shown]

s_cmpk_ge_i32 s105, 0x1234
// GFX11: s_cmpk_ge_i32 s105, 0x1234              ; encoding: [0x34,0x12,0x69,0xb3]

s_cmpk_ge_i32 vcc_hi, 0x1234
// GFX11: s_cmpk_ge_i32 vcc_hi, 0x1234            ; encoding: [0x34,0x12,0x6b,0xb3]

s_cmpk_ge_i32 vcc_lo, 0x1234
// GFX11: s_cmpk_ge_i32 vcc_lo, 0x1234            ; encoding: [0x34,0x12,0x6a,0xb3]

s_cmpk_ge_u32 exec_hi, 0x1234
// GFX11: s_cmpk_ge_u32 exec_hi, 0x1234           ; encoding: [0x34,0x12,0x7f,0xb6]

s_cmpk_ge_u32 exec_lo, 0x1234
// GFX11: s_cmpk_ge_u32 exec_lo, 0x1234           ; encoding: [0x34,0x12,0x7e,0xb6]

s_cmpk_ge_u32 m0, 0x1234
// GFX11: s_cmpk_ge_u32 m0, 0x1234                ; encoding: [0x34,0x12,0x7d,0xb6]

s_cmpk_ge_u32 s0, 0x1234
// GFX11: s_cmpk_ge_u32 s0, 0x1234                ; encoding: [0x34,0x12,0x00,0xb6]

s_cmpk_ge_u32 s0, 0xc1d1
// GFX11: s_cmpk_ge_u32 s0, 0xc1d1                ; encoding: [0xd1,0xc1,0x00,0xb6]

s_cmpk_ge_u32 s105, 0x1234
// GFX11: s_cmpk_ge_u32 s105, 0x1234              ; encoding: [0x34,0x12,0x69,0xb6]

s_cmpk_ge_u32 vcc_hi, 0x1234
// GFX11: s_cmpk_ge_u32 vcc_hi, 0x1234            ; encoding: [0x34,0x12,0x6b,0xb6]

s_cmpk_ge_u32 vcc_lo, 0x1234
// GFX11: s_cmpk_ge_u32 vcc_lo, 0x1234            ; encoding: [0x34,0x12,0x6a,0xb6]

s_cmpk_gt_i32 exec_hi, 0x1234
// GFX11: s_cmpk_gt_i32 exec_hi, 0x1234           ; encoding: [0x34,0x12,0xff,0xb2]

s_cmpk_gt_i32 exec_lo, 0x1234
// GFX11: s_cmpk_gt_i32 exec_lo, 0x1234           ; encoding: [0x34,0x12,0xfe,0xb2]

s_cmpk_gt_i32 m0, 0x1234
// GFX11: s_cmpk_gt_i32 m0, 0x1234                ; encoding: [0x34,0x12,0xfd,0xb2]

s_cmpk_gt_i32 s0, 0x1234
// GFX11: s_cmpk_gt_i32 s0, 0x1234                ; encoding: [0x34,0x12,0x80,0xb2]

s_cmpk_gt_i32 s0, 0xc1d1
// GFX11: s_cmpk_gt_i32 s0, 0xc1d1                ; encoding: [0xd1,0xc1,0x80,0xb2]

s_cmpk_gt_i32 s105, 0x1234
// GFX11: s_cmpk_gt_i32 s105, 0x1234              ; encoding: [0x34,0x12,0xe9,0xb2]

s_cmpk_gt_i32 vcc_hi, 0x1234
// GFX11: s_cmpk_gt_i32 vcc_hi, 0x1234            ; encoding: [0x34,0x12,0xeb,0xb2]

s_cmpk_gt_i32 vcc_lo, 0x1234
// GFX11: s_cmpk_gt_i32 vcc_lo, 0x1234            ; encoding: [0x34,0x12,0xea,0xb2]

s_cmpk_gt_u32 exec_hi, 0x1234
// GFX11: s_cmpk_gt_u32 exec_hi, 0x1234           ; encoding: [0x34,0x12,0xff,0xb5]

s_cmpk_gt_u32 exec_lo, 0x1234
// GFX11: s_cmpk_gt_u32 exec_lo, 0x1234           ; encoding: [0x34,0x12,0xfe,0xb5]

s_cmpk_gt_u32 m0, 0x1234
// GFX11: s_cmpk_gt_u32 m0, 0x1234                ; encoding: [0x34,0x12,0xfd,0xb5]

s_cmpk_gt_u32 s0, 0x1234
// GFX11: s_cmpk_gt_u32 s0, 0x1234                ; encoding: [0x34,0x12,0x80,0xb5]
	;; [unrolled: 3-line block ×3, first 2 shown]

s_cmpk_gt_u32 s105, 0x1234
// GFX11: s_cmpk_gt_u32 s105, 0x1234              ; encoding: [0x34,0x12,0xe9,0xb5]

s_cmpk_gt_u32 vcc_hi, 0x1234
// GFX11: s_cmpk_gt_u32 vcc_hi, 0x1234            ; encoding: [0x34,0x12,0xeb,0xb5]

s_cmpk_gt_u32 vcc_lo, 0x1234
// GFX11: s_cmpk_gt_u32 vcc_lo, 0x1234            ; encoding: [0x34,0x12,0xea,0xb5]

s_cmpk_le_i32 exec_hi, 0x1234
// GFX11: s_cmpk_le_i32 exec_hi, 0x1234           ; encoding: [0x34,0x12,0x7f,0xb4]

s_cmpk_le_i32 exec_lo, 0x1234
// GFX11: s_cmpk_le_i32 exec_lo, 0x1234           ; encoding: [0x34,0x12,0x7e,0xb4]

s_cmpk_le_i32 m0, 0x1234
// GFX11: s_cmpk_le_i32 m0, 0x1234                ; encoding: [0x34,0x12,0x7d,0xb4]

s_cmpk_le_i32 s0, 0x1234
// GFX11: s_cmpk_le_i32 s0, 0x1234                ; encoding: [0x34,0x12,0x00,0xb4]
	;; [unrolled: 3-line block ×3, first 2 shown]

s_cmpk_le_i32 s105, 0x1234
// GFX11: s_cmpk_le_i32 s105, 0x1234              ; encoding: [0x34,0x12,0x69,0xb4]

s_cmpk_le_i32 vcc_hi, 0x1234
// GFX11: s_cmpk_le_i32 vcc_hi, 0x1234            ; encoding: [0x34,0x12,0x6b,0xb4]

s_cmpk_le_i32 vcc_lo, 0x1234
// GFX11: s_cmpk_le_i32 vcc_lo, 0x1234            ; encoding: [0x34,0x12,0x6a,0xb4]

s_cmpk_le_u32 exec_hi, 0x1234
// GFX11: s_cmpk_le_u32 exec_hi, 0x1234           ; encoding: [0x34,0x12,0x7f,0xb7]

s_cmpk_le_u32 exec_lo, 0x1234
// GFX11: s_cmpk_le_u32 exec_lo, 0x1234           ; encoding: [0x34,0x12,0x7e,0xb7]

s_cmpk_le_u32 m0, 0x1234
// GFX11: s_cmpk_le_u32 m0, 0x1234                ; encoding: [0x34,0x12,0x7d,0xb7]

s_cmpk_le_u32 s0, 0x1234
// GFX11: s_cmpk_le_u32 s0, 0x1234                ; encoding: [0x34,0x12,0x00,0xb7]
	;; [unrolled: 3-line block ×3, first 2 shown]

s_cmpk_le_u32 s105, 0x1234
// GFX11: s_cmpk_le_u32 s105, 0x1234              ; encoding: [0x34,0x12,0x69,0xb7]

s_cmpk_le_u32 vcc_hi, 0x1234
// GFX11: s_cmpk_le_u32 vcc_hi, 0x1234            ; encoding: [0x34,0x12,0x6b,0xb7]

s_cmpk_le_u32 vcc_lo, 0x1234
// GFX11: s_cmpk_le_u32 vcc_lo, 0x1234            ; encoding: [0x34,0x12,0x6a,0xb7]

s_cmpk_lg_i32 exec_hi, 0x1234
// GFX11: s_cmpk_lg_i32 exec_hi, 0x1234           ; encoding: [0x34,0x12,0x7f,0xb2]

s_cmpk_lg_i32 exec_lo, 0x1234
// GFX11: s_cmpk_lg_i32 exec_lo, 0x1234           ; encoding: [0x34,0x12,0x7e,0xb2]

s_cmpk_lg_i32 m0, 0x1234
// GFX11: s_cmpk_lg_i32 m0, 0x1234                ; encoding: [0x34,0x12,0x7d,0xb2]

s_cmpk_lg_i32 s0, 0x1234
// GFX11: s_cmpk_lg_i32 s0, 0x1234                ; encoding: [0x34,0x12,0x00,0xb2]
	;; [unrolled: 3-line block ×3, first 2 shown]

s_cmpk_lg_i32 s105, 0x1234
// GFX11: s_cmpk_lg_i32 s105, 0x1234              ; encoding: [0x34,0x12,0x69,0xb2]

s_cmpk_lg_i32 vcc_hi, 0x1234
// GFX11: s_cmpk_lg_i32 vcc_hi, 0x1234            ; encoding: [0x34,0x12,0x6b,0xb2]

s_cmpk_lg_i32 vcc_lo, 0x1234
// GFX11: s_cmpk_lg_i32 vcc_lo, 0x1234            ; encoding: [0x34,0x12,0x6a,0xb2]

s_cmpk_lg_u32 exec_hi, 0x1234
// GFX11: s_cmpk_lg_u32 exec_hi, 0x1234           ; encoding: [0x34,0x12,0x7f,0xb5]

s_cmpk_lg_u32 exec_lo, 0x1234
// GFX11: s_cmpk_lg_u32 exec_lo, 0x1234           ; encoding: [0x34,0x12,0x7e,0xb5]

s_cmpk_lg_u32 m0, 0x1234
// GFX11: s_cmpk_lg_u32 m0, 0x1234                ; encoding: [0x34,0x12,0x7d,0xb5]

s_cmpk_lg_u32 s0, 0x1234
// GFX11: s_cmpk_lg_u32 s0, 0x1234                ; encoding: [0x34,0x12,0x00,0xb5]
	;; [unrolled: 3-line block ×3, first 2 shown]

s_cmpk_lg_u32 s105, 0x1234
// GFX11: s_cmpk_lg_u32 s105, 0x1234              ; encoding: [0x34,0x12,0x69,0xb5]

s_cmpk_lg_u32 vcc_hi, 0x1234
// GFX11: s_cmpk_lg_u32 vcc_hi, 0x1234            ; encoding: [0x34,0x12,0x6b,0xb5]

s_cmpk_lg_u32 vcc_lo, 0x1234
// GFX11: s_cmpk_lg_u32 vcc_lo, 0x1234            ; encoding: [0x34,0x12,0x6a,0xb5]

s_cmpk_lt_i32 exec_hi, 0x1234
// GFX11: s_cmpk_lt_i32 exec_hi, 0x1234           ; encoding: [0x34,0x12,0xff,0xb3]

s_cmpk_lt_i32 exec_lo, 0x1234
// GFX11: s_cmpk_lt_i32 exec_lo, 0x1234           ; encoding: [0x34,0x12,0xfe,0xb3]

s_cmpk_lt_i32 m0, 0x1234
// GFX11: s_cmpk_lt_i32 m0, 0x1234                ; encoding: [0x34,0x12,0xfd,0xb3]

s_cmpk_lt_i32 s0, 0x1234
// GFX11: s_cmpk_lt_i32 s0, 0x1234                ; encoding: [0x34,0x12,0x80,0xb3]
	;; [unrolled: 3-line block ×3, first 2 shown]

s_cmpk_lt_i32 s105, 0x1234
// GFX11: s_cmpk_lt_i32 s105, 0x1234              ; encoding: [0x34,0x12,0xe9,0xb3]

s_cmpk_lt_i32 vcc_hi, 0x1234
// GFX11: s_cmpk_lt_i32 vcc_hi, 0x1234            ; encoding: [0x34,0x12,0xeb,0xb3]

s_cmpk_lt_i32 vcc_lo, 0x1234
// GFX11: s_cmpk_lt_i32 vcc_lo, 0x1234            ; encoding: [0x34,0x12,0xea,0xb3]

s_cmpk_lt_u32 exec_hi, 0x1234
// GFX11: s_cmpk_lt_u32 exec_hi, 0x1234           ; encoding: [0x34,0x12,0xff,0xb6]

s_cmpk_lt_u32 exec_lo, 0x1234
// GFX11: s_cmpk_lt_u32 exec_lo, 0x1234           ; encoding: [0x34,0x12,0xfe,0xb6]

s_cmpk_lt_u32 m0, 0x1234
// GFX11: s_cmpk_lt_u32 m0, 0x1234                ; encoding: [0x34,0x12,0xfd,0xb6]

s_cmpk_lt_u32 s0, 0x1234
// GFX11: s_cmpk_lt_u32 s0, 0x1234                ; encoding: [0x34,0x12,0x80,0xb6]
	;; [unrolled: 3-line block ×3, first 2 shown]

s_cmpk_lt_u32 s105, 0x1234
// GFX11: s_cmpk_lt_u32 s105, 0x1234              ; encoding: [0x34,0x12,0xe9,0xb6]

s_cmpk_lt_u32 vcc_hi, 0x1234
// GFX11: s_cmpk_lt_u32 vcc_hi, 0x1234            ; encoding: [0x34,0x12,0xeb,0xb6]

s_cmpk_lt_u32 vcc_lo, 0x1234
// GFX11: s_cmpk_lt_u32 vcc_lo, 0x1234            ; encoding: [0x34,0x12,0xea,0xb6]

s_getreg_b32 exec_hi, 0x1234
// GFX11: s_getreg_b32 exec_hi, hwreg(52, 8, 3)   ; encoding: [0x34,0x12,0xff,0xb8]

s_getreg_b32 exec_lo, 0x1234
// GFX11: s_getreg_b32 exec_lo, hwreg(52, 8, 3)   ; encoding: [0x34,0x12,0xfe,0xb8]

s_getreg_b32 m0, 0x1234
// GFX11: s_getreg_b32 m0, hwreg(52, 8, 3)        ; encoding: [0x34,0x12,0xfd,0xb8]

s_getreg_b32 s0, 0x1234
// GFX11: s_getreg_b32 s0, hwreg(52, 8, 3)        ; encoding: [0x34,0x12,0x80,0xb8]

s_getreg_b32 s0, 0xc1d1
// GFX11: s_getreg_b32 s0, hwreg(17, 7, 25)       ; encoding: [0xd1,0xc1,0x80,0xb8]

s_getreg_b32 s0, hwreg(HW_REG_PERF_SNAPSHOT_DATA)
// GFX11: s_getreg_b32 s0, hwreg(HW_REG_PERF_SNAPSHOT_DATA) ; encoding: [0x1b,0xf8,0x80,0xb8]

s_getreg_b32 s0, hwreg(HW_REG_PERF_SNAPSHOT_PC_HI)
// GFX11: s_getreg_b32 s0, hwreg(HW_REG_PERF_SNAPSHOT_PC_HI) ; encoding: [0x13,0xf8,0x80,0xb8]

s_getreg_b32 s0, hwreg(HW_REG_PERF_SNAPSHOT_PC_LO)
// GFX11: s_getreg_b32 s0, hwreg(HW_REG_PERF_SNAPSHOT_PC_LO) ; encoding: [0x12,0xf8,0x80,0xb8]

s_getreg_b32 s105, 0x1234
// GFX11: s_getreg_b32 s105, hwreg(52, 8, 3)      ; encoding: [0x34,0x12,0xe9,0xb8]

s_getreg_b32 vcc_hi, 0x1234
// GFX11: s_getreg_b32 vcc_hi, hwreg(52, 8, 3)    ; encoding: [0x34,0x12,0xeb,0xb8]

s_getreg_b32 vcc_lo, 0x1234
// GFX11: s_getreg_b32 vcc_lo, hwreg(52, 8, 3)    ; encoding: [0x34,0x12,0xea,0xb8]

s_movk_i32 exec_hi, 0x1234
// GFX11: s_movk_i32 exec_hi, 0x1234              ; encoding: [0x34,0x12,0x7f,0xb0]

s_movk_i32 exec_lo, 0x1234
// GFX11: s_movk_i32 exec_lo, 0x1234              ; encoding: [0x34,0x12,0x7e,0xb0]

s_movk_i32 m0, 0x1234
// GFX11: s_movk_i32 m0, 0x1234                   ; encoding: [0x34,0x12,0x7d,0xb0]

s_movk_i32 s0, 0x1234
// GFX11: s_movk_i32 s0, 0x1234                   ; encoding: [0x34,0x12,0x00,0xb0]

s_movk_i32 s0, 0xc1d1
// GFX11: s_movk_i32 s0, 0xc1d1                   ; encoding: [0xd1,0xc1,0x00,0xb0]

s_movk_i32 s105, 0x1234
// GFX11: s_movk_i32 s105, 0x1234                 ; encoding: [0x34,0x12,0x69,0xb0]

s_movk_i32 vcc_hi, 0x1234
// GFX11: s_movk_i32 vcc_hi, 0x1234               ; encoding: [0x34,0x12,0x6b,0xb0]

s_movk_i32 vcc_lo, 0x1234
// GFX11: s_movk_i32 vcc_lo, 0x1234               ; encoding: [0x34,0x12,0x6a,0xb0]

s_mulk_i32 exec_hi, 0x1234
// GFX11: s_mulk_i32 exec_hi, 0x1234              ; encoding: [0x34,0x12,0x7f,0xb8]

s_mulk_i32 exec_lo, 0x1234
// GFX11: s_mulk_i32 exec_lo, 0x1234              ; encoding: [0x34,0x12,0x7e,0xb8]

s_mulk_i32 m0, 0x1234
// GFX11: s_mulk_i32 m0, 0x1234                   ; encoding: [0x34,0x12,0x7d,0xb8]

s_mulk_i32 s0, 0x1234
// GFX11: s_mulk_i32 s0, 0x1234                   ; encoding: [0x34,0x12,0x00,0xb8]
	;; [unrolled: 3-line block ×3, first 2 shown]

s_mulk_i32 s105, 0x1234
// GFX11: s_mulk_i32 s105, 0x1234                 ; encoding: [0x34,0x12,0x69,0xb8]

s_mulk_i32 vcc_hi, 0x1234
// GFX11: s_mulk_i32 vcc_hi, 0x1234               ; encoding: [0x34,0x12,0x6b,0xb8]

s_mulk_i32 vcc_lo, 0x1234
// GFX11: s_mulk_i32 vcc_lo, 0x1234               ; encoding: [0x34,0x12,0x6a,0xb8]

s_setreg_b32 0x1234, exec_hi
// GFX11: s_setreg_b32 hwreg(52, 8, 3), exec_hi   ; encoding: [0x34,0x12,0x7f,0xb9]

s_setreg_b32 0x1234, exec_lo
// GFX11: s_setreg_b32 hwreg(52, 8, 3), exec_lo   ; encoding: [0x34,0x12,0x7e,0xb9]

s_setreg_b32 0x1234, m0
// GFX11: s_setreg_b32 hwreg(52, 8, 3), m0        ; encoding: [0x34,0x12,0x7d,0xb9]

s_setreg_b32 0x1234, s0
// GFX11: s_setreg_b32 hwreg(52, 8, 3), s0        ; encoding: [0x34,0x12,0x00,0xb9]

s_setreg_b32 0x1234, s105
// GFX11: s_setreg_b32 hwreg(52, 8, 3), s105      ; encoding: [0x34,0x12,0x69,0xb9]

s_setreg_b32 0x1234, vcc_hi
// GFX11: s_setreg_b32 hwreg(52, 8, 3), vcc_hi    ; encoding: [0x34,0x12,0x6b,0xb9]

s_setreg_b32 0x1234, vcc_lo
// GFX11: s_setreg_b32 hwreg(52, 8, 3), vcc_lo    ; encoding: [0x34,0x12,0x6a,0xb9]

s_setreg_b32 0xc1d1, s0
// GFX11: s_setreg_b32 hwreg(17, 7, 25), s0       ; encoding: [0xd1,0xc1,0x00,0xb9]

s_setreg_imm32_b32 0x1234, 0x11213141
// GFX11: s_setreg_imm32_b32 hwreg(52, 8, 3), 0x11213141 ; encoding: [0x34,0x12,0x80,0xb9,0x41,0x31,0x21,0x11]

s_setreg_imm32_b32 0x1234, 0xa1b1c1d1
// GFX11: s_setreg_imm32_b32 hwreg(52, 8, 3), 0xa1b1c1d1 ; encoding: [0x34,0x12,0x80,0xb9,0xd1,0xc1,0xb1,0xa1]
	;; [unrolled: 3-line block ×4, first 2 shown]

s_subvector_loop_begin exec_hi, 0x1234
// GFX11: s_subvector_loop_begin exec_hi, 4660    ; encoding: [0x34,0x12,0x7f,0xbb]

s_subvector_loop_begin exec_lo, 0x1234
// GFX11: s_subvector_loop_begin exec_lo, 4660    ; encoding: [0x34,0x12,0x7e,0xbb]

s_subvector_loop_begin m0, 0x1234
// GFX11: s_subvector_loop_begin m0, 4660         ; encoding: [0x34,0x12,0x7d,0xbb]

s_subvector_loop_begin s0, 0x1234
// GFX11: s_subvector_loop_begin s0, 4660         ; encoding: [0x34,0x12,0x00,0xbb]

s_subvector_loop_begin s105, 0x1234
// GFX11: s_subvector_loop_begin s105, 4660       ; encoding: [0x34,0x12,0x69,0xbb]

s_subvector_loop_begin vcc_hi, 0x1234
// GFX11: s_subvector_loop_begin vcc_hi, 4660     ; encoding: [0x34,0x12,0x6b,0xbb]

s_subvector_loop_begin vcc_lo, 0x1234
// GFX11: s_subvector_loop_begin vcc_lo, 4660     ; encoding: [0x34,0x12,0x6a,0xbb]

s_subvector_loop_end exec_hi, 0x1234
// GFX11: s_subvector_loop_end exec_hi, 4660      ; encoding: [0x34,0x12,0xff,0xbb]

s_subvector_loop_end exec_lo, 0x1234
// GFX11: s_subvector_loop_end exec_lo, 4660      ; encoding: [0x34,0x12,0xfe,0xbb]

s_subvector_loop_end m0, 0x1234
// GFX11: s_subvector_loop_end m0, 4660           ; encoding: [0x34,0x12,0xfd,0xbb]

s_subvector_loop_end s0, 0x1234
// GFX11: s_subvector_loop_end s0, 4660           ; encoding: [0x34,0x12,0x80,0xbb]

s_subvector_loop_end s105, 0x1234
// GFX11: s_subvector_loop_end s105, 4660         ; encoding: [0x34,0x12,0xe9,0xbb]

s_subvector_loop_end vcc_hi, 0x1234
// GFX11: s_subvector_loop_end vcc_hi, 4660       ; encoding: [0x34,0x12,0xeb,0xbb]

s_subvector_loop_end vcc_lo, 0x1234
// GFX11: s_subvector_loop_end vcc_lo, 4660       ; encoding: [0x34,0x12,0xea,0xbb]

s_version 0x1234
// GFX11: s_version 0x1234                        ; encoding: [0x34,0x12,0x80,0xb0]

s_version 0xc1d1
// GFX11: s_version 0xc1d1                        ; encoding: [0xd1,0xc1,0x80,0xb0]

s_waitcnt_expcnt null, 0x1234
// GFX11: s_waitcnt_expcnt null, 0x1234           ; encoding: [0x34,0x12,0x7c,0xbd]

s_waitcnt_expcnt null, 0xc1d1
// GFX11: s_waitcnt_expcnt null, 0xc1d1           ; encoding: [0xd1,0xc1,0x7c,0xbd]

s_waitcnt_lgkmcnt null, 0x1234
// GFX11: s_waitcnt_lgkmcnt null, 0x1234          ; encoding: [0x34,0x12,0xfc,0xbd]

s_waitcnt_lgkmcnt null, 0xc1d1
// GFX11: s_waitcnt_lgkmcnt null, 0xc1d1          ; encoding: [0xd1,0xc1,0xfc,0xbd]

s_waitcnt_vmcnt null, 0x1234
// GFX11: s_waitcnt_vmcnt null, 0x1234            ; encoding: [0x34,0x12,0xfc,0xbc]

s_waitcnt_vmcnt null, 0xc1d1
// GFX11: s_waitcnt_vmcnt null, 0xc1d1            ; encoding: [0xd1,0xc1,0xfc,0xbc]

s_waitcnt_vscnt null, 0x1234
// GFX11: s_waitcnt_vscnt null, 0x1234            ; encoding: [0x34,0x12,0x7c,0xbc]

s_waitcnt_vscnt null, 0xc1d1
// GFX11: s_waitcnt_vscnt null, 0xc1d1            ; encoding: [0xd1,0xc1,0x7c,0xbc]
